;; amdgpu-corpus repo=ROCm/rocFFT kind=compiled arch=gfx950 opt=O3
	.text
	.amdgcn_target "amdgcn-amd-amdhsa--gfx950"
	.amdhsa_code_object_version 6
	.protected	fft_rtc_fwd_len208_factors_13_16_wgs_144_tpt_16_dp_ip_CI_sbcc_twdbase5_3step_dirReg ; -- Begin function fft_rtc_fwd_len208_factors_13_16_wgs_144_tpt_16_dp_ip_CI_sbcc_twdbase5_3step_dirReg
	.globl	fft_rtc_fwd_len208_factors_13_16_wgs_144_tpt_16_dp_ip_CI_sbcc_twdbase5_3step_dirReg
	.p2align	8
	.type	fft_rtc_fwd_len208_factors_13_16_wgs_144_tpt_16_dp_ip_CI_sbcc_twdbase5_3step_dirReg,@function
fft_rtc_fwd_len208_factors_13_16_wgs_144_tpt_16_dp_ip_CI_sbcc_twdbase5_3step_dirReg: ; @fft_rtc_fwd_len208_factors_13_16_wgs_144_tpt_16_dp_ip_CI_sbcc_twdbase5_3step_dirReg
; %bb.0:
	s_load_dwordx8 s[4:11], s[0:1], 0x8
	s_movk_i32 s3, 0x60
	v_cmp_gt_u32_e32 vcc, s3, v0
	s_and_saveexec_b64 s[12:13], vcc
	s_cbranch_execz .LBB0_2
; %bb.1:
	v_lshlrev_b32_e32 v1, 4, v0
	s_waitcnt lgkmcnt(0)
	global_load_dwordx4 v[2:5], v1, s[4:5]
	v_add_u32_e32 v1, 0, v1
	v_add_u32_e32 v1, 0x7500, v1
	s_waitcnt vmcnt(0)
	ds_write2_b64 v1, v[2:3], v[4:5] offset1:1
.LBB0_2:
	s_or_b64 exec, exec, s[12:13]
	s_waitcnt lgkmcnt(0)
	s_load_dwordx2 s[18:19], s[8:9], 0x8
	s_mov_b32 s3, 0
	s_mov_b64 s[24:25], 0
	s_waitcnt lgkmcnt(0)
	s_add_u32 s4, s18, -1
	s_addc_u32 s5, s19, -1
	s_add_u32 s12, 0, 0x71c4fc00
	s_addc_u32 s13, 0, 0x7c
	s_mul_hi_u32 s15, s12, -9
	s_add_i32 s13, s13, 0x1c71c6a0
	s_sub_i32 s15, s15, s12
	s_mul_i32 s20, s13, -9
	s_mul_i32 s14, s12, -9
	s_add_i32 s15, s15, s20
	s_mul_hi_u32 s16, s13, s14
	s_mul_i32 s17, s13, s14
	s_mul_i32 s21, s12, s15
	s_mul_hi_u32 s14, s12, s14
	s_mul_hi_u32 s20, s12, s15
	s_add_u32 s14, s14, s21
	s_addc_u32 s20, 0, s20
	s_add_u32 s14, s14, s17
	s_mul_hi_u32 s21, s13, s15
	s_addc_u32 s14, s20, s16
	s_addc_u32 s16, s21, 0
	s_mul_i32 s15, s13, s15
	s_add_u32 s14, s14, s15
	v_mov_b32_e32 v1, s14
	s_addc_u32 s15, 0, s16
	v_add_co_u32_e32 v1, vcc, s12, v1
	s_cmp_lg_u64 vcc, 0
	s_addc_u32 s12, s13, s15
	v_readfirstlane_b32 s15, v1
	s_mul_i32 s14, s4, s12
	s_mul_hi_u32 s16, s4, s15
	s_mul_hi_u32 s13, s4, s12
	s_add_u32 s14, s16, s14
	s_addc_u32 s13, 0, s13
	s_mul_hi_u32 s17, s5, s15
	s_mul_i32 s15, s5, s15
	s_add_u32 s14, s14, s15
	s_mul_hi_u32 s16, s5, s12
	s_addc_u32 s13, s13, s17
	s_addc_u32 s14, s16, 0
	s_mul_i32 s12, s5, s12
	s_add_u32 s12, s13, s12
	s_addc_u32 s13, 0, s14
	s_add_u32 s14, s12, 1
	s_addc_u32 s15, s13, 0
	s_add_u32 s16, s12, 2
	s_mul_i32 s20, s13, 9
	s_mul_hi_u32 s21, s12, 9
	s_addc_u32 s17, s13, 0
	s_add_i32 s21, s21, s20
	s_mul_i32 s20, s12, 9
	v_mov_b32_e32 v1, s20
	v_sub_co_u32_e32 v1, vcc, s4, v1
	s_cmp_lg_u64 vcc, 0
	s_subb_u32 s4, s5, s21
	v_subrev_co_u32_e32 v2, vcc, 9, v1
	s_cmp_lg_u64 vcc, 0
	s_subb_u32 s5, s4, 0
	v_readfirstlane_b32 s20, v2
	s_cmp_gt_u32 s20, 8
	s_cselect_b32 s20, -1, 0
	s_cmp_eq_u32 s5, 0
	s_cselect_b32 s5, s20, -1
	s_cmp_lg_u32 s5, 0
	s_cselect_b32 s5, s16, s14
	s_cselect_b32 s14, s17, s15
	v_readfirstlane_b32 s15, v1
	s_cmp_gt_u32 s15, 8
	s_cselect_b32 s15, -1, 0
	s_cmp_eq_u32 s4, 0
	s_cselect_b32 s4, s15, -1
	s_cmp_lg_u32 s4, 0
	s_cselect_b32 s5, s5, s12
	s_cselect_b32 s4, s14, s13
	s_add_u32 s20, s5, 1
	s_addc_u32 s21, s4, 0
	v_mov_b64_e32 v[2:3], s[20:21]
	v_cmp_lt_u64_e32 vcc, s[2:3], v[2:3]
	s_cbranch_vccnz .LBB0_4
; %bb.3:
	v_cvt_f32_u32_e32 v1, s20
	s_sub_i32 s4, 0, s20
	s_mov_b32 s25, s3
	v_rcp_iflag_f32_e32 v1, v1
	s_nop 0
	v_mul_f32_e32 v1, 0x4f7ffffe, v1
	v_cvt_u32_f32_e32 v1, v1
	s_nop 0
	v_readfirstlane_b32 s5, v1
	s_mul_i32 s4, s4, s5
	s_mul_hi_u32 s4, s5, s4
	s_add_i32 s5, s5, s4
	s_mul_hi_u32 s4, s2, s5
	s_mul_i32 s12, s4, s20
	s_sub_i32 s12, s2, s12
	s_add_i32 s5, s4, 1
	s_sub_i32 s13, s12, s20
	s_cmp_ge_u32 s12, s20
	s_cselect_b32 s4, s5, s4
	s_cselect_b32 s12, s13, s12
	s_add_i32 s5, s4, 1
	s_cmp_ge_u32 s12, s20
	s_cselect_b32 s24, s5, s4
.LBB0_4:
	s_load_dwordx2 s[4:5], s[0:1], 0x58
	s_load_dwordx2 s[16:17], s[0:1], 0x0
	s_load_dwordx4 s[12:15], s[10:11], 0x0
	s_mul_i32 s0, s24, s21
	s_mul_hi_u32 s1, s24, s20
	s_add_i32 s1, s1, s0
	s_mul_i32 s0, s24, s20
	s_sub_u32 s0, s2, s0
	s_subb_u32 s1, 0, s1
	s_mul_i32 s1, s1, 9
	s_mul_hi_u32 s22, s0, 9
	s_add_i32 s23, s22, s1
	s_mul_i32 s22, s0, 9
	s_waitcnt lgkmcnt(0)
	s_mul_i32 s0, s14, s23
	s_mul_hi_u32 s1, s14, s22
	s_add_i32 s0, s1, s0
	s_mul_i32 s1, s15, s22
	s_add_i32 s33, s0, s1
	v_cmp_lt_u64_e64 s[0:1], s[6:7], 3
	s_mul_i32 s38, s14, s22
	s_and_b64 vcc, exec, s[0:1]
	s_cbranch_vccnz .LBB0_14
; %bb.5:
	s_add_u32 s26, s10, 16
	s_addc_u32 s27, s11, 0
	s_add_u32 s8, s8, 16
	s_addc_u32 s9, s9, 0
	s_mov_b64 s[28:29], 2
	s_mov_b32 s30, 0
	v_mov_b64_e32 v[2:3], s[6:7]
.LBB0_6:                                ; =>This Inner Loop Header: Depth=1
	s_load_dwordx2 s[34:35], s[8:9], 0x0
	s_waitcnt lgkmcnt(0)
	s_or_b64 s[0:1], s[24:25], s[34:35]
	s_mov_b32 s31, s1
	s_cmp_lg_u64 s[30:31], 0
	s_cbranch_scc0 .LBB0_11
; %bb.7:                                ;   in Loop: Header=BB0_6 Depth=1
	v_cvt_f32_u32_e32 v1, s34
	v_cvt_f32_u32_e32 v4, s35
	s_sub_u32 s0, 0, s34
	s_subb_u32 s1, 0, s35
	v_fmac_f32_e32 v1, 0x4f800000, v4
	v_rcp_f32_e32 v1, v1
	s_nop 0
	v_mul_f32_e32 v1, 0x5f7ffffc, v1
	v_mul_f32_e32 v4, 0x2f800000, v1
	v_trunc_f32_e32 v4, v4
	v_fmac_f32_e32 v1, 0xcf800000, v4
	v_cvt_u32_f32_e32 v4, v4
	v_cvt_u32_f32_e32 v1, v1
	v_readfirstlane_b32 s31, v4
	v_readfirstlane_b32 s36, v1
	s_mul_i32 s37, s0, s31
	s_mul_hi_u32 s40, s0, s36
	s_mul_i32 s39, s1, s36
	s_add_i32 s37, s40, s37
	s_mul_i32 s41, s0, s36
	s_add_i32 s37, s37, s39
	s_mul_hi_u32 s39, s36, s37
	s_mul_i32 s40, s36, s37
	s_mul_hi_u32 s36, s36, s41
	s_add_u32 s36, s36, s40
	s_addc_u32 s39, 0, s39
	s_mul_hi_u32 s42, s31, s41
	s_mul_i32 s41, s31, s41
	s_add_u32 s36, s36, s41
	s_mul_hi_u32 s40, s31, s37
	s_addc_u32 s36, s39, s42
	s_addc_u32 s39, s40, 0
	s_mul_i32 s37, s31, s37
	s_add_u32 s36, s36, s37
	s_addc_u32 s37, 0, s39
	v_add_co_u32_e32 v1, vcc, s36, v1
	s_cmp_lg_u64 vcc, 0
	s_addc_u32 s31, s31, s37
	v_readfirstlane_b32 s37, v1
	s_mul_i32 s36, s0, s31
	s_mul_hi_u32 s39, s0, s37
	s_add_i32 s36, s39, s36
	s_mul_i32 s1, s1, s37
	s_add_i32 s36, s36, s1
	s_mul_i32 s0, s0, s37
	s_mul_hi_u32 s39, s31, s0
	s_mul_i32 s40, s31, s0
	s_mul_i32 s42, s37, s36
	s_mul_hi_u32 s0, s37, s0
	s_mul_hi_u32 s41, s37, s36
	s_add_u32 s0, s0, s42
	s_addc_u32 s37, 0, s41
	s_add_u32 s0, s0, s40
	s_mul_hi_u32 s1, s31, s36
	s_addc_u32 s0, s37, s39
	s_addc_u32 s1, s1, 0
	s_mul_i32 s36, s31, s36
	s_add_u32 s0, s0, s36
	s_addc_u32 s1, 0, s1
	v_add_co_u32_e32 v1, vcc, s0, v1
	s_cmp_lg_u64 vcc, 0
	s_addc_u32 s0, s31, s1
	v_readfirstlane_b32 s36, v1
	s_mul_i32 s31, s24, s0
	s_mul_hi_u32 s37, s24, s36
	s_mul_hi_u32 s1, s24, s0
	s_add_u32 s31, s37, s31
	s_addc_u32 s1, 0, s1
	s_mul_hi_u32 s39, s25, s36
	s_mul_i32 s36, s25, s36
	s_add_u32 s31, s31, s36
	s_mul_hi_u32 s37, s25, s0
	s_addc_u32 s1, s1, s39
	s_addc_u32 s31, s37, 0
	s_mul_i32 s0, s25, s0
	s_add_u32 s36, s1, s0
	s_addc_u32 s31, 0, s31
	s_mul_i32 s0, s34, s31
	s_mul_hi_u32 s1, s34, s36
	s_add_i32 s0, s1, s0
	s_mul_i32 s1, s35, s36
	s_add_i32 s37, s0, s1
	s_mul_i32 s1, s34, s36
	v_mov_b32_e32 v1, s1
	s_sub_i32 s0, s25, s37
	v_sub_co_u32_e32 v1, vcc, s24, v1
	s_cmp_lg_u64 vcc, 0
	s_subb_u32 s39, s0, s35
	v_subrev_co_u32_e64 v4, s[0:1], s34, v1
	s_cmp_lg_u64 s[0:1], 0
	s_subb_u32 s0, s39, 0
	s_cmp_ge_u32 s0, s35
	v_readfirstlane_b32 s39, v4
	s_cselect_b32 s1, -1, 0
	s_cmp_ge_u32 s39, s34
	s_cselect_b32 s39, -1, 0
	s_cmp_eq_u32 s0, s35
	s_cselect_b32 s0, s39, s1
	s_add_u32 s1, s36, 1
	s_addc_u32 s39, s31, 0
	s_add_u32 s40, s36, 2
	s_addc_u32 s41, s31, 0
	s_cmp_lg_u32 s0, 0
	s_cselect_b32 s0, s40, s1
	s_cselect_b32 s1, s41, s39
	s_cmp_lg_u64 vcc, 0
	s_subb_u32 s37, s25, s37
	s_cmp_ge_u32 s37, s35
	v_readfirstlane_b32 s40, v1
	s_cselect_b32 s39, -1, 0
	s_cmp_ge_u32 s40, s34
	s_cselect_b32 s40, -1, 0
	s_cmp_eq_u32 s37, s35
	s_cselect_b32 s37, s40, s39
	s_cmp_lg_u32 s37, 0
	s_cselect_b32 s1, s1, s31
	s_cselect_b32 s0, s0, s36
	s_cbranch_execnz .LBB0_9
.LBB0_8:                                ;   in Loop: Header=BB0_6 Depth=1
	v_cvt_f32_u32_e32 v1, s34
	s_sub_i32 s0, 0, s34
	v_rcp_iflag_f32_e32 v1, v1
	s_nop 0
	v_mul_f32_e32 v1, 0x4f7ffffe, v1
	v_cvt_u32_f32_e32 v1, v1
	s_nop 0
	v_readfirstlane_b32 s1, v1
	s_mul_i32 s0, s0, s1
	s_mul_hi_u32 s0, s1, s0
	s_add_i32 s1, s1, s0
	s_mul_hi_u32 s0, s24, s1
	s_mul_i32 s31, s0, s34
	s_sub_i32 s31, s24, s31
	s_add_i32 s1, s0, 1
	s_sub_i32 s36, s31, s34
	s_cmp_ge_u32 s31, s34
	s_cselect_b32 s0, s1, s0
	s_cselect_b32 s31, s36, s31
	s_add_i32 s1, s0, 1
	s_cmp_ge_u32 s31, s34
	s_cselect_b32 s0, s1, s0
	s_mov_b32 s1, s30
.LBB0_9:                                ;   in Loop: Header=BB0_6 Depth=1
	s_mul_i32 s21, s34, s21
	s_mul_hi_u32 s31, s34, s20
	s_add_i32 s21, s31, s21
	s_mul_i32 s31, s35, s20
	s_add_i32 s21, s21, s31
	s_mul_i32 s31, s0, s35
	s_mul_hi_u32 s35, s0, s34
	s_load_dwordx2 s[36:37], s[26:27], 0x0
	s_add_i32 s31, s35, s31
	s_mul_i32 s35, s1, s34
	s_mul_i32 s20, s34, s20
	s_add_i32 s31, s31, s35
	s_mul_i32 s34, s0, s34
	s_sub_u32 s24, s24, s34
	s_subb_u32 s25, s25, s31
	s_waitcnt lgkmcnt(0)
	s_mul_i32 s25, s36, s25
	s_mul_hi_u32 s31, s36, s24
	s_add_i32 s25, s31, s25
	s_mul_i32 s31, s37, s24
	s_add_i32 s25, s25, s31
	s_mul_i32 s24, s36, s24
	s_add_u32 s38, s24, s38
	s_addc_u32 s33, s25, s33
	s_add_u32 s28, s28, 1
	s_addc_u32 s29, s29, 0
	;; [unrolled: 2-line block ×3, first 2 shown]
	s_add_u32 s8, s8, 8
	v_cmp_ge_u64_e32 vcc, s[28:29], v[2:3]
	s_addc_u32 s9, s9, 0
	s_cbranch_vccnz .LBB0_12
; %bb.10:                               ;   in Loop: Header=BB0_6 Depth=1
	s_mov_b64 s[24:25], s[0:1]
	s_branch .LBB0_6
.LBB0_11:                               ;   in Loop: Header=BB0_6 Depth=1
                                        ; implicit-def: $sgpr0_sgpr1
	s_branch .LBB0_8
.LBB0_12:
	v_mov_b64_e32 v[2:3], s[20:21]
	v_cmp_lt_u64_e32 vcc, s[2:3], v[2:3]
	s_mov_b64 s[24:25], 0
	s_cbranch_vccnz .LBB0_14
; %bb.13:
	v_cvt_f32_u32_e32 v1, s20
	s_sub_i32 s0, 0, s20
	v_rcp_iflag_f32_e32 v1, v1
	s_nop 0
	v_mul_f32_e32 v1, 0x4f7ffffe, v1
	v_cvt_u32_f32_e32 v1, v1
	s_nop 0
	v_readfirstlane_b32 s1, v1
	s_mul_i32 s0, s0, s1
	s_mul_hi_u32 s0, s1, s0
	s_add_i32 s1, s1, s0
	s_mul_hi_u32 s0, s2, s1
	s_mul_i32 s3, s0, s20
	s_sub_i32 s2, s2, s3
	s_add_i32 s1, s0, 1
	s_sub_i32 s3, s2, s20
	s_cmp_ge_u32 s2, s20
	s_cselect_b32 s0, s1, s0
	s_cselect_b32 s2, s3, s2
	s_add_i32 s1, s0, 1
	s_cmp_ge_u32 s2, s20
	s_cselect_b32 s24, s1, s0
.LBB0_14:
	s_lshl_b64 s[0:1], s[6:7], 3
	s_add_u32 s0, s10, s0
	s_addc_u32 s1, s11, s1
	s_load_dwordx2 s[0:1], s[0:1], 0x0
	s_mov_b32 s2, 0x1c71c71d
	v_mul_hi_u32 v98, v0, s2
	v_mul_u32_u24_e32 v1, 9, v98
	v_sub_u32_e32 v66, v0, v1
	s_waitcnt lgkmcnt(0)
	s_mul_i32 s1, s1, s24
	s_mul_hi_u32 s2, s0, s24
	s_mul_i32 s0, s0, s24
	s_add_i32 s2, s2, s1
	s_add_u32 s6, s0, s38
	s_addc_u32 s7, s2, s33
	v_mov_b32_e32 v67, 0
	s_add_u32 s0, s22, 9
	v_lshl_add_u64 v[68:69], s[22:23], 0, v[66:67]
	s_addc_u32 s1, s23, 0
	v_mov_b64_e32 v[2:3], s[18:19]
	v_cmp_le_u64_e32 vcc, s[0:1], v[2:3]
	v_cmp_gt_u64_e64 s[0:1], s[18:19], v[68:69]
	s_or_b64 s[8:9], vcc, s[0:1]
                                        ; implicit-def: $vgpr48_vgpr49
                                        ; implicit-def: $vgpr40_vgpr41
                                        ; implicit-def: $vgpr32_vgpr33
                                        ; implicit-def: $vgpr24_vgpr25
                                        ; implicit-def: $vgpr20_vgpr21
                                        ; implicit-def: $vgpr12_vgpr13
                                        ; implicit-def: $vgpr28_vgpr29
                                        ; implicit-def: $vgpr44_vgpr45
                                        ; implicit-def: $vgpr52_vgpr53
                                        ; implicit-def: $vgpr56_vgpr57
                                        ; implicit-def: $vgpr36_vgpr37
                                        ; implicit-def: $vgpr16_vgpr17
                                        ; implicit-def: $vgpr8_vgpr9
	s_and_saveexec_b64 s[2:3], s[8:9]
	s_cbranch_execz .LBB0_16
; %bb.15:
	v_mad_u64_u32 v[2:3], s[8:9], s14, v66, 0
	v_mov_b32_e32 v4, v3
	v_mad_u64_u32 v[4:5], s[8:9], s15, v66, v[4:5]
	v_mov_b32_e32 v3, v4
	;; [unrolled: 2-line block ×3, first 2 shown]
	v_mad_u64_u32 v[6:7], s[8:9], s13, v98, v[6:7]
	s_lshl_b64 s[8:9], s[6:7], 4
	s_add_u32 s8, s4, s8
	s_addc_u32 s9, s5, s9
	v_add_u32_e32 v1, 16, v98
	v_mov_b32_e32 v5, v6
	v_lshl_add_u64 v[2:3], v[2:3], 4, s[8:9]
	v_mad_u64_u32 v[6:7], s[8:9], s12, v1, 0
	v_mov_b32_e32 v8, v7
	v_mad_u64_u32 v[8:9], s[8:9], s13, v1, v[8:9]
	v_lshl_add_u64 v[4:5], v[4:5], 4, v[2:3]
	v_mov_b32_e32 v7, v8
	v_or_b32_e32 v1, 32, v98
	v_lshl_add_u64 v[10:11], v[6:7], 4, v[2:3]
	global_load_dwordx4 v[6:9], v[4:5], off
	global_load_dwordx4 v[46:49], v[10:11], off
	v_mad_u64_u32 v[4:5], s[8:9], s12, v1, 0
	v_mov_b32_e32 v10, v5
	v_mad_u64_u32 v[10:11], s[8:9], s13, v1, v[10:11]
	v_add_u32_e32 v1, 48, v98
	v_mov_b32_e32 v5, v10
	v_mad_u64_u32 v[10:11], s[8:9], s12, v1, 0
	v_mov_b32_e32 v12, v11
	v_mad_u64_u32 v[12:13], s[8:9], s13, v1, v[12:13]
	v_lshl_add_u64 v[4:5], v[4:5], 4, v[2:3]
	v_mov_b32_e32 v11, v12
	v_or_b32_e32 v1, 64, v98
	v_lshl_add_u64 v[10:11], v[10:11], 4, v[2:3]
	global_load_dwordx4 v[38:41], v[4:5], off
	global_load_dwordx4 v[30:33], v[10:11], off
	v_mad_u64_u32 v[4:5], s[8:9], s12, v1, 0
	v_mov_b32_e32 v10, v5
	v_mad_u64_u32 v[10:11], s[8:9], s13, v1, v[10:11]
	v_add_u32_e32 v1, 0x50, v98
	v_mov_b32_e32 v5, v10
	;; [unrolled: 14-line block ×5, first 2 shown]
	v_mad_u64_u32 v[42:43], s[8:9], s12, v1, 0
	v_mov_b32_e32 v44, v43
	v_mad_u64_u32 v[44:45], s[8:9], s13, v1, v[44:45]
	v_lshl_add_u64 v[4:5], v[4:5], 4, v[2:3]
	v_mov_b32_e32 v43, v44
	v_or_b32_e32 v1, 0xc0, v98
	v_lshl_add_u64 v[54:55], v[42:43], 4, v[2:3]
	global_load_dwordx4 v[42:45], v[4:5], off
	global_load_dwordx4 v[50:53], v[54:55], off
	v_mad_u64_u32 v[4:5], s[8:9], s12, v1, 0
	v_mov_b32_e32 v54, v5
	v_mad_u64_u32 v[54:55], s[8:9], s13, v1, v[54:55]
	v_mov_b32_e32 v5, v54
	v_lshl_add_u64 v[2:3], v[4:5], 4, v[2:3]
	global_load_dwordx4 v[54:57], v[2:3], off
.LBB0_16:
	s_or_b64 exec, exec, s[2:3]
	s_waitcnt vmcnt(11)
	v_add_f64 v[2:3], v[46:47], v[6:7]
	v_add_f64 v[4:5], v[48:49], v[8:9]
	s_waitcnt vmcnt(10)
	v_add_f64 v[2:3], v[38:39], v[2:3]
	v_add_f64 v[4:5], v[40:41], v[4:5]
	;; [unrolled: 3-line block ×9, first 2 shown]
	s_mov_b32 s18, 0xe00740e9
	s_mov_b32 s10, 0x1ea71119
	;; [unrolled: 1-line block ×6, first 2 shown]
	s_waitcnt vmcnt(2)
	v_add_f64 v[2:3], v[42:43], v[2:3]
	v_add_f64 v[4:5], v[44:45], v[4:5]
	s_waitcnt vmcnt(0)
	v_add_f64 v[88:89], v[46:47], v[54:55]
	s_mov_b32 s19, 0x3fec55a7
	s_mov_b32 s22, 0x4267c47c
	s_mov_b32 s11, 0x3fe22d96
	s_mov_b32 s20, 0x42a4c3d2
	s_mov_b32 s3, 0x3fbedb7d
	s_mov_b32 s8, 0x66966769
	s_mov_b32 s25, 0xbfd6b1d8
	s_mov_b32 s40, 0x2ef20147
	s_mov_b32 s29, 0xbfe7f3cc
	s_mov_b32 s42, 0x24c2f84
	s_mov_b32 s45, 0xbfef11f4
	s_mov_b32 s46, 0x4bc48dbf
	v_add_f64 v[2:3], v[50:51], v[2:3]
	v_add_f64 v[4:5], v[52:53], v[4:5]
	v_add_f64 v[80:81], v[46:47], -v[54:55]
	v_add_f64 v[82:83], v[48:49], -v[56:57]
	v_add_f64 v[60:61], v[30:31], v[42:43]
	v_add_f64 v[58:59], v[30:31], -v[42:43]
	v_add_f64 v[72:73], v[22:23], v[34:35]
	;; [unrolled: 2-line block ×4, first 2 shown]
	v_add_f64 v[94:95], v[14:15], -v[10:11]
	s_mov_b32 s23, 0x3fddbe06
	s_mov_b32 s39, 0xbfddbe06
	s_mov_b32 s38, s22
	v_mul_f64 v[10:11], v[88:89], s[18:19]
	s_mov_b32 s21, 0x3fea55e2
	s_mov_b32 s37, 0xbfea55e2
	s_mov_b32 s36, s20
	v_mul_f64 v[14:15], v[88:89], s[10:11]
	;; [unrolled: 4-line block ×5, first 2 shown]
	v_mul_f64 v[30:31], v[88:89], s[44:45]
	s_mov_b32 s47, 0x3fcea1e5
	s_mov_b32 s49, 0xbfcea1e5
	s_mov_b32 s48, s46
	v_add_f64 v[2:3], v[54:55], v[2:3]
	v_add_f64 v[4:5], v[56:57], v[4:5]
	;; [unrolled: 1-line block ×5, first 2 shown]
	v_add_f64 v[46:47], v[38:39], -v[50:51]
	v_add_f64 v[50:51], v[40:41], -v[52:53]
	v_add_f64 v[52:53], v[32:33], v[44:45]
	v_add_f64 v[56:57], v[32:33], -v[44:45]
	v_add_f64 v[62:63], v[24:25], v[36:37]
	;; [unrolled: 2-line block ×4, first 2 shown]
	v_add_f64 v[92:93], v[16:17], -v[12:13]
	v_fma_f64 v[12:13], s[22:23], v[82:83], v[10:11]
	v_fmac_f64_e32 v[10:11], s[38:39], v[82:83]
	v_fma_f64 v[16:17], s[20:21], v[82:83], v[14:15]
	v_fmac_f64_e32 v[14:15], s[36:37], v[82:83]
	;; [unrolled: 2-line block ×6, first 2 shown]
	v_mul_f64 v[42:43], v[80:81], s[30:31]
	v_mul_f64 v[82:83], v[80:81], s[26:27]
	;; [unrolled: 1-line block ×4, first 2 shown]
	v_fma_f64 v[44:45], s[2:3], v[78:79], v[42:43]
	v_fma_f64 v[88:89], s[24:25], v[78:79], v[82:83]
	v_mul_f64 v[100:101], v[80:81], s[34:35]
	v_mul_f64 v[80:81], v[80:81], s[48:49]
	v_add_f64 v[108:109], v[14:15], v[6:7]
	v_mul_f64 v[14:15], v[48:49], s[10:11]
	v_fma_f64 v[36:37], s[18:19], v[78:79], v[34:35]
	v_fma_f64 v[34:35], v[78:79], s[18:19], -v[34:35]
	v_fma_f64 v[40:41], s[10:11], v[78:79], v[38:39]
	v_fma_f64 v[38:39], v[78:79], s[10:11], -v[38:39]
	v_fma_f64 v[42:43], v[78:79], s[2:3], -v[42:43]
	;; [unrolled: 1-line block ×3, first 2 shown]
	v_fma_f64 v[102:103], s[28:29], v[78:79], v[100:101]
	v_fma_f64 v[100:101], v[78:79], s[28:29], -v[100:101]
	v_fma_f64 v[104:105], s[44:45], v[78:79], v[80:81]
	v_fma_f64 v[78:79], v[78:79], s[44:45], -v[80:81]
	v_add_f64 v[12:13], v[12:13], v[6:7]
	v_add_f64 v[10:11], v[10:11], v[6:7]
	;; [unrolled: 1-line block ×13, first 2 shown]
	v_fma_f64 v[6:7], s[20:21], v[50:51], v[14:15]
	v_mul_f64 v[16:17], v[60:61], s[2:3]
	v_add_f64 v[6:7], v[6:7], v[12:13]
	v_mul_f64 v[12:13], v[46:47], s[36:37]
	v_fma_f64 v[18:19], s[8:9], v[56:57], v[16:17]
	v_add_f64 v[36:37], v[36:37], v[8:9]
	v_add_f64 v[34:35], v[34:35], v[8:9]
	;; [unrolled: 1-line block ×10, first 2 shown]
	v_fma_f64 v[8:9], s[10:11], v[54:55], v[12:13]
	v_add_f64 v[6:7], v[18:19], v[6:7]
	v_mul_f64 v[18:19], v[58:59], s[30:31]
	v_add_f64 v[8:9], v[8:9], v[36:37]
	v_fma_f64 v[20:21], s[2:3], v[52:53], v[18:19]
	v_add_f64 v[8:9], v[20:21], v[8:9]
	v_mul_f64 v[20:21], v[72:73], s[24:25]
	v_fma_f64 v[22:23], s[40:41], v[64:65], v[20:21]
	v_add_f64 v[6:7], v[22:23], v[6:7]
	v_mul_f64 v[22:23], v[70:71], s[26:27]
	;; [unrolled: 3-line block ×4, first 2 shown]
	v_fmac_f64_e32 v[14:15], s[36:37], v[50:51]
	v_fma_f64 v[28:29], s[28:29], v[74:75], v[26:27]
	v_add_f64 v[10:11], v[14:15], v[10:11]
	v_fma_f64 v[12:13], v[54:55], s[10:11], -v[12:13]
	v_fmac_f64_e32 v[16:17], s[30:31], v[56:57]
	v_add_f64 v[8:9], v[28:29], v[8:9]
	v_mul_f64 v[28:29], v[96:97], s[44:45]
	v_add_f64 v[12:13], v[12:13], v[34:35]
	v_add_f64 v[10:11], v[16:17], v[10:11]
	v_fma_f64 v[14:15], v[52:53], s[2:3], -v[18:19]
	v_fmac_f64_e32 v[20:21], s[26:27], v[64:65]
	v_fma_f64 v[30:31], s[46:47], v[92:93], v[28:29]
	v_add_f64 v[12:13], v[14:15], v[12:13]
	v_add_f64 v[10:11], v[20:21], v[10:11]
	v_fma_f64 v[14:15], v[62:63], s[24:25], -v[22:23]
	v_fmac_f64_e32 v[24:25], s[34:35], v[76:77]
	v_add_f64 v[6:7], v[30:31], v[6:7]
	v_mul_f64 v[30:31], v[94:95], s[48:49]
	v_add_f64 v[12:13], v[14:15], v[12:13]
	v_add_f64 v[10:11], v[24:25], v[10:11]
	v_fma_f64 v[14:15], v[74:75], s[28:29], -v[26:27]
	v_fmac_f64_e32 v[28:29], s[48:49], v[92:93]
	v_add_f64 v[12:13], v[14:15], v[12:13]
	v_add_f64 v[14:15], v[28:29], v[10:11]
	v_fma_f64 v[10:11], v[90:91], s[44:45], -v[30:31]
	v_mul_f64 v[18:19], v[48:49], s[24:25]
	v_add_f64 v[16:17], v[10:11], v[12:13]
	v_fma_f64 v[10:11], s[40:41], v[50:51], v[18:19]
	v_mul_f64 v[22:23], v[60:61], s[44:45]
	v_add_f64 v[10:11], v[10:11], v[106:107]
	v_mul_f64 v[20:21], v[46:47], s[26:27]
	v_fma_f64 v[24:25], s[46:47], v[56:57], v[22:23]
	v_fma_f64 v[12:13], s[24:25], v[54:55], v[20:21]
	v_add_f64 v[10:11], v[24:25], v[10:11]
	v_mul_f64 v[24:25], v[58:59], s[48:49]
	v_add_f64 v[12:13], v[12:13], v[40:41]
	v_fma_f64 v[26:27], s[44:45], v[52:53], v[24:25]
	v_add_f64 v[12:13], v[26:27], v[12:13]
	v_mul_f64 v[26:27], v[72:73], s[28:29]
	v_fma_f64 v[28:29], s[34:35], v[64:65], v[26:27]
	v_add_f64 v[10:11], v[28:29], v[10:11]
	v_mul_f64 v[28:29], v[70:71], s[42:43]
	v_fma_f64 v[32:33], s[44:45], v[90:91], v[30:31]
	v_fma_f64 v[30:31], s[28:29], v[62:63], v[28:29]
	v_add_f64 v[12:13], v[30:31], v[12:13]
	v_mul_f64 v[30:31], v[86:87], s[2:3]
	v_add_f64 v[8:9], v[32:33], v[8:9]
	v_fma_f64 v[32:33], s[30:31], v[76:77], v[30:31]
	v_add_f64 v[10:11], v[32:33], v[10:11]
	v_mul_f64 v[32:33], v[84:85], s[8:9]
	v_fmac_f64_e32 v[18:19], s[26:27], v[50:51]
	v_fma_f64 v[34:35], s[2:3], v[74:75], v[32:33]
	v_add_f64 v[18:19], v[18:19], v[108:109]
	v_fma_f64 v[20:21], v[54:55], s[24:25], -v[20:21]
	v_fmac_f64_e32 v[22:23], s[48:49], v[56:57]
	v_add_f64 v[12:13], v[34:35], v[12:13]
	v_mul_f64 v[34:35], v[96:97], s[18:19]
	v_add_f64 v[20:21], v[20:21], v[38:39]
	v_add_f64 v[18:19], v[22:23], v[18:19]
	v_fma_f64 v[22:23], v[52:53], s[44:45], -v[24:25]
	v_fma_f64 v[36:37], s[38:39], v[92:93], v[34:35]
	v_add_f64 v[20:21], v[22:23], v[20:21]
	v_fma_f64 v[22:23], v[62:63], s[28:29], -v[28:29]
	v_add_f64 v[10:11], v[36:37], v[10:11]
	v_mul_f64 v[36:37], v[94:95], s[22:23]
	v_fmac_f64_e32 v[26:27], s[42:43], v[64:65]
	v_add_f64 v[20:21], v[22:23], v[20:21]
	v_fma_f64 v[22:23], v[74:75], s[2:3], -v[32:33]
	v_add_f64 v[18:19], v[26:27], v[18:19]
	v_fmac_f64_e32 v[30:31], s[8:9], v[76:77]
	v_add_f64 v[20:21], v[22:23], v[20:21]
	v_fma_f64 v[22:23], v[90:91], s[18:19], -v[36:37]
	v_mul_f64 v[26:27], v[48:49], s[44:45]
	v_add_f64 v[18:19], v[30:31], v[18:19]
	v_add_f64 v[20:21], v[22:23], v[20:21]
	v_fma_f64 v[22:23], s[46:47], v[50:51], v[26:27]
	v_mul_f64 v[30:31], v[60:61], s[24:25]
	v_add_f64 v[22:23], v[22:23], v[110:111]
	v_mul_f64 v[28:29], v[46:47], s[48:49]
	v_fma_f64 v[32:33], s[26:27], v[56:57], v[30:31]
	v_fmac_f64_e32 v[34:35], s[22:23], v[92:93]
	v_fma_f64 v[24:25], s[44:45], v[54:55], v[28:29]
	v_add_f64 v[22:23], v[32:33], v[22:23]
	v_mul_f64 v[32:33], v[58:59], s[40:41]
	v_add_f64 v[18:19], v[34:35], v[18:19]
	v_add_f64 v[24:25], v[24:25], v[112:113]
	v_fma_f64 v[34:35], s[24:25], v[52:53], v[32:33]
	v_add_f64 v[24:25], v[34:35], v[24:25]
	v_mul_f64 v[34:35], v[72:73], s[18:19]
	v_fma_f64 v[40:41], s[18:19], v[90:91], v[36:37]
	v_fma_f64 v[36:37], s[38:39], v[64:65], v[34:35]
	v_add_f64 v[22:23], v[36:37], v[22:23]
	v_mul_f64 v[36:37], v[70:71], s[22:23]
	v_fma_f64 v[38:39], s[18:19], v[62:63], v[36:37]
	v_add_f64 v[24:25], v[38:39], v[24:25]
	v_mul_f64 v[38:39], v[86:87], s[10:11]
	v_add_f64 v[12:13], v[40:41], v[12:13]
	v_fma_f64 v[40:41], s[20:21], v[76:77], v[38:39]
	v_add_f64 v[22:23], v[40:41], v[22:23]
	v_mul_f64 v[40:41], v[84:85], s[36:37]
	v_fmac_f64_e32 v[26:27], s[48:49], v[50:51]
	v_fma_f64 v[100:101], s[10:11], v[74:75], v[40:41]
	v_add_f64 v[26:27], v[26:27], v[114:115]
	v_fma_f64 v[28:29], v[54:55], s[44:45], -v[28:29]
	v_fmac_f64_e32 v[30:31], s[40:41], v[56:57]
	v_add_f64 v[24:25], v[100:101], v[24:25]
	v_mul_f64 v[100:101], v[96:97], s[28:29]
	v_add_f64 v[28:29], v[28:29], v[116:117]
	v_add_f64 v[26:27], v[30:31], v[26:27]
	v_fma_f64 v[30:31], v[52:53], s[24:25], -v[32:33]
	v_fma_f64 v[104:105], s[42:43], v[92:93], v[100:101]
	v_add_f64 v[28:29], v[30:31], v[28:29]
	v_fma_f64 v[30:31], v[62:63], s[18:19], -v[36:37]
	v_add_f64 v[22:23], v[104:105], v[22:23]
	v_mul_f64 v[104:105], v[94:95], s[34:35]
	v_fmac_f64_e32 v[34:35], s[22:23], v[64:65]
	v_add_f64 v[28:29], v[30:31], v[28:29]
	v_fma_f64 v[30:31], v[74:75], s[10:11], -v[40:41]
	v_add_f64 v[26:27], v[34:35], v[26:27]
	v_fmac_f64_e32 v[38:39], s[36:37], v[76:77]
	v_add_f64 v[28:29], v[30:31], v[28:29]
	v_fma_f64 v[30:31], v[90:91], s[28:29], -v[104:105]
	v_mul_f64 v[34:35], v[48:49], s[28:29]
	v_add_f64 v[26:27], v[38:39], v[26:27]
	v_add_f64 v[28:29], v[30:31], v[28:29]
	v_fma_f64 v[30:31], s[34:35], v[50:51], v[34:35]
	v_mul_f64 v[38:39], v[60:61], s[18:19]
	v_add_f64 v[30:31], v[30:31], v[118:119]
	v_mul_f64 v[36:37], v[46:47], s[42:43]
	v_fma_f64 v[40:41], s[38:39], v[56:57], v[38:39]
	v_fmac_f64_e32 v[100:101], s[34:35], v[92:93]
	v_fma_f64 v[32:33], s[28:29], v[54:55], v[36:37]
	v_add_f64 v[30:31], v[40:41], v[30:31]
	v_mul_f64 v[40:41], v[58:59], s[22:23]
	v_add_f64 v[26:27], v[100:101], v[26:27]
	v_add_f64 v[32:33], v[32:33], v[120:121]
	v_fma_f64 v[100:101], s[18:19], v[52:53], v[40:41]
	v_add_f64 v[32:33], v[100:101], v[32:33]
	v_mul_f64 v[100:101], v[72:73], s[2:3]
	v_fma_f64 v[106:107], s[28:29], v[90:91], v[104:105]
	v_fma_f64 v[104:105], s[8:9], v[64:65], v[100:101]
	v_add_f64 v[30:31], v[104:105], v[30:31]
	v_mul_f64 v[104:105], v[70:71], s[30:31]
	v_add_f64 v[24:25], v[106:107], v[24:25]
	v_fma_f64 v[106:107], s[2:3], v[62:63], v[104:105]
	v_add_f64 v[32:33], v[106:107], v[32:33]
	v_mul_f64 v[106:107], v[86:87], s[44:45]
	v_fma_f64 v[108:109], s[48:49], v[76:77], v[106:107]
	v_add_f64 v[30:31], v[108:109], v[30:31]
	v_mul_f64 v[108:109], v[84:85], s[46:47]
	v_fmac_f64_e32 v[34:35], s[42:43], v[50:51]
	v_fma_f64 v[110:111], s[44:45], v[74:75], v[108:109]
	v_add_f64 v[34:35], v[34:35], v[122:123]
	v_fma_f64 v[36:37], v[54:55], s[28:29], -v[36:37]
	v_fmac_f64_e32 v[38:39], s[22:23], v[56:57]
	v_add_f64 v[32:33], v[110:111], v[32:33]
	v_mul_f64 v[110:111], v[96:97], s[10:11]
	v_add_f64 v[36:37], v[36:37], v[124:125]
	v_add_f64 v[34:35], v[38:39], v[34:35]
	v_fma_f64 v[38:39], v[52:53], s[18:19], -v[40:41]
	v_fma_f64 v[112:113], s[36:37], v[92:93], v[110:111]
	v_add_f64 v[36:37], v[38:39], v[36:37]
	v_fma_f64 v[38:39], v[62:63], s[2:3], -v[104:105]
	v_add_f64 v[30:31], v[112:113], v[30:31]
	v_mul_f64 v[112:113], v[94:95], s[20:21]
	v_fmac_f64_e32 v[100:101], s[30:31], v[64:65]
	v_add_f64 v[36:37], v[38:39], v[36:37]
	v_fma_f64 v[38:39], v[74:75], s[44:45], -v[108:109]
	v_mul_f64 v[104:105], v[46:47], s[8:9]
	v_add_f64 v[34:35], v[100:101], v[34:35]
	v_add_f64 v[36:37], v[38:39], v[36:37]
	v_fma_f64 v[38:39], v[90:91], s[10:11], -v[112:113]
	v_mul_f64 v[100:101], v[48:49], s[2:3]
	v_fma_f64 v[40:41], s[2:3], v[54:55], v[104:105]
	v_fmac_f64_e32 v[106:107], s[46:47], v[76:77]
	v_add_f64 v[36:37], v[38:39], v[36:37]
	v_fma_f64 v[38:39], s[30:31], v[50:51], v[100:101]
	v_add_f64 v[40:41], v[40:41], v[102:103]
	v_mul_f64 v[102:103], v[60:61], s[10:11]
	v_add_f64 v[34:35], v[106:107], v[34:35]
	v_add_f64 v[38:39], v[38:39], v[126:127]
	v_fma_f64 v[106:107], s[20:21], v[56:57], v[102:103]
	v_add_f64 v[38:39], v[106:107], v[38:39]
	v_mul_f64 v[106:107], v[58:59], s[36:37]
	v_fma_f64 v[108:109], s[10:11], v[52:53], v[106:107]
	v_fmac_f64_e32 v[110:111], s[20:21], v[92:93]
	v_add_f64 v[40:41], v[108:109], v[40:41]
	v_mul_f64 v[108:109], v[72:73], s[44:45]
	v_add_f64 v[34:35], v[110:111], v[34:35]
	v_fma_f64 v[110:111], s[48:49], v[64:65], v[108:109]
	v_add_f64 v[38:39], v[110:111], v[38:39]
	v_mul_f64 v[110:111], v[70:71], s[46:47]
	v_fma_f64 v[114:115], s[10:11], v[90:91], v[112:113]
	v_fma_f64 v[112:113], s[44:45], v[62:63], v[110:111]
	v_add_f64 v[40:41], v[112:113], v[40:41]
	v_mul_f64 v[112:113], v[86:87], s[18:19]
	v_add_f64 v[32:33], v[114:115], v[32:33]
	v_fma_f64 v[114:115], s[38:39], v[76:77], v[112:113]
	v_add_f64 v[38:39], v[114:115], v[38:39]
	v_mul_f64 v[114:115], v[84:85], s[22:23]
	v_fmac_f64_e32 v[100:101], s[8:9], v[50:51]
	v_fma_f64 v[116:117], s[18:19], v[74:75], v[114:115]
	v_add_f64 v[44:45], v[100:101], v[44:45]
	v_fma_f64 v[100:101], v[54:55], s[2:3], -v[104:105]
	v_fmac_f64_e32 v[102:103], s[36:37], v[56:57]
	v_add_f64 v[40:41], v[116:117], v[40:41]
	v_mul_f64 v[116:117], v[96:97], s[24:25]
	v_add_f64 v[42:43], v[100:101], v[42:43]
	v_add_f64 v[44:45], v[102:103], v[44:45]
	v_fma_f64 v[100:101], v[52:53], s[10:11], -v[106:107]
	v_fmac_f64_e32 v[108:109], s[46:47], v[64:65]
	v_fma_f64 v[118:119], s[40:41], v[92:93], v[116:117]
	v_add_f64 v[42:43], v[100:101], v[42:43]
	v_add_f64 v[44:45], v[108:109], v[44:45]
	v_fma_f64 v[100:101], v[62:63], s[44:45], -v[110:111]
	v_fmac_f64_e32 v[112:113], s[22:23], v[76:77]
	v_add_f64 v[38:39], v[118:119], v[38:39]
	v_mul_f64 v[118:119], v[94:95], s[26:27]
	v_add_f64 v[42:43], v[100:101], v[42:43]
	v_add_f64 v[44:45], v[112:113], v[44:45]
	v_fma_f64 v[100:101], v[74:75], s[18:19], -v[114:115]
	v_fmac_f64_e32 v[116:117], s[26:27], v[92:93]
	v_add_f64 v[100:101], v[100:101], v[42:43]
	v_add_f64 v[42:43], v[116:117], v[44:45]
	v_fma_f64 v[44:45], v[90:91], s[24:25], -v[118:119]
	v_add_f64 v[44:45], v[44:45], v[100:101]
	v_mul_f64 v[100:101], v[48:49], s[18:19]
	v_fma_f64 v[48:49], s[38:39], v[50:51], v[100:101]
	v_add_f64 v[48:49], v[48:49], v[88:89]
	v_mul_f64 v[88:89], v[46:47], s[22:23]
	v_fma_f64 v[46:47], s[18:19], v[54:55], v[88:89]
	v_mul_f64 v[60:61], v[60:61], s[28:29]
	v_add_f64 v[46:47], v[46:47], v[82:83]
	v_fma_f64 v[82:83], s[42:43], v[56:57], v[60:61]
	v_mul_f64 v[58:59], v[58:59], s[34:35]
	v_add_f64 v[48:49], v[82:83], v[48:49]
	;; [unrolled: 3-line block ×4, first 2 shown]
	v_fma_f64 v[82:83], s[10:11], v[62:63], v[70:71]
	v_add_f64 v[46:47], v[82:83], v[46:47]
	v_mul_f64 v[82:83], v[86:87], s[24:25]
	v_fma_f64 v[54:55], v[54:55], s[18:19], -v[88:89]
	v_fma_f64 v[86:87], s[40:41], v[76:77], v[82:83]
	v_mul_f64 v[84:85], v[84:85], s[26:27]
	v_fmac_f64_e32 v[100:101], s[22:23], v[50:51]
	v_add_f64 v[54:55], v[54:55], v[78:79]
	v_fma_f64 v[52:53], v[52:53], s[28:29], -v[58:59]
	v_add_f64 v[48:49], v[86:87], v[48:49]
	v_fma_f64 v[86:87], s[24:25], v[74:75], v[84:85]
	v_mul_f64 v[96:97], v[96:97], s[2:3]
	v_add_f64 v[50:51], v[100:101], v[80:81]
	v_fmac_f64_e32 v[60:61], s[34:35], v[56:57]
	v_add_f64 v[52:53], v[52:53], v[54:55]
	v_fma_f64 v[54:55], v[62:63], s[10:11], -v[70:71]
	v_add_f64 v[86:87], v[86:87], v[46:47]
	v_fma_f64 v[46:47], s[30:31], v[92:93], v[96:97]
	v_mul_f64 v[94:95], v[94:95], s[8:9]
	v_add_f64 v[50:51], v[60:61], v[50:51]
	v_fmac_f64_e32 v[72:73], s[20:21], v[64:65]
	v_add_f64 v[52:53], v[54:55], v[52:53]
	v_fma_f64 v[54:55], v[74:75], s[24:25], -v[84:85]
	v_add_f64 v[46:47], v[46:47], v[48:49]
	v_fma_f64 v[48:49], s[2:3], v[90:91], v[94:95]
	v_add_f64 v[50:51], v[72:73], v[50:51]
	v_fmac_f64_e32 v[82:83], s[26:27], v[76:77]
	v_add_f64 v[52:53], v[54:55], v[52:53]
	v_fma_f64 v[54:55], v[90:91], s[2:3], -v[94:95]
	s_movk_i32 s2, 0x750
	v_fma_f64 v[120:121], s[24:25], v[90:91], v[118:119]
	v_add_f64 v[50:51], v[82:83], v[50:51]
	v_fmac_f64_e32 v[96:97], s[8:9], v[92:93]
	v_mad_u32_u24 v1, v98, s2, 0
	s_movk_i32 s2, 0x75
	v_add_f64 v[40:41], v[120:121], v[40:41]
	v_add_f64 v[48:49], v[48:49], v[86:87]
	;; [unrolled: 1-line block ×4, first 2 shown]
	v_lshl_add_u32 v54, v66, 4, v1
	v_cmp_gt_u32_e64 s[2:3], s2, v0
	ds_write_b128 v54, v[2:5]
	ds_write_b128 v54, v[6:9] offset:144
	ds_write_b128 v54, v[10:13] offset:288
	ds_write_b128 v54, v[22:25] offset:432
	ds_write_b128 v54, v[30:33] offset:576
	ds_write_b128 v54, v[38:41] offset:720
	ds_write_b128 v54, v[46:49] offset:864
	ds_write_b128 v54, v[50:53] offset:1008
	ds_write_b128 v54, v[42:45] offset:1152
	ds_write_b128 v54, v[34:37] offset:1296
	ds_write_b128 v54, v[26:29] offset:1440
	ds_write_b128 v54, v[18:21] offset:1584
	ds_write_b128 v54, v[14:17] offset:1728
	s_waitcnt lgkmcnt(0)
	s_barrier
	s_waitcnt lgkmcnt(0)
                                        ; implicit-def: $vgpr56_vgpr57
                                        ; implicit-def: $vgpr60_vgpr61
                                        ; implicit-def: $vgpr64_vgpr65
	s_and_saveexec_b64 s[8:9], s[2:3]
	s_cbranch_execz .LBB0_18
; %bb.17:
	v_mul_i32_i24_e32 v0, 0xfffff940, v98
	v_lshlrev_b32_e32 v2, 4, v66
	v_add3_u32 v0, v1, v0, v2
	ds_read_b128 v[2:5], v0
	ds_read_b128 v[6:9], v0 offset:1872
	ds_read_b128 v[10:13], v0 offset:3744
	;; [unrolled: 1-line block ×15, first 2 shown]
.LBB0_18:
	s_or_b64 exec, exec, s[8:9]
	s_mov_b32 s8, 0x13b13b14
	v_mul_hi_u32 v0, v98, s8
	v_mul_u32_u24_e32 v0, 13, v0
	v_sub_u32_e32 v67, v98, v0
	v_mul_u32_u24_e32 v0, 15, v67
	v_lshlrev_b32_e32 v69, 4, v0
	global_load_dwordx4 v[70:73], v69, s[16:17]
	global_load_dwordx4 v[74:77], v69, s[16:17] offset:16
	global_load_dwordx4 v[78:81], v69, s[16:17] offset:32
	;; [unrolled: 1-line block ×11, first 2 shown]
	s_mov_b32 s8, 0x667f3bcd
	s_mov_b32 s9, 0xbfe6a09e
	;; [unrolled: 1-line block ×9, first 2 shown]
	s_waitcnt vmcnt(11) lgkmcnt(14)
	v_mul_f64 v[0:1], v[8:9], v[72:73]
	v_mul_f64 v[120:121], v[6:7], v[72:73]
	s_waitcnt vmcnt(10) lgkmcnt(13)
	v_mul_f64 v[72:73], v[12:13], v[76:77]
	v_mul_f64 v[76:77], v[10:11], v[76:77]
	v_fma_f64 v[0:1], v[6:7], v[70:71], -v[0:1]
	v_fmac_f64_e32 v[120:121], v[8:9], v[70:71]
	global_load_dwordx4 v[6:9], v69, s[16:17] offset:192
	v_fma_f64 v[122:123], v[10:11], v[74:75], -v[72:73]
	v_fmac_f64_e32 v[76:77], v[12:13], v[74:75]
	global_load_dwordx4 v[10:13], v69, s[16:17] offset:208
	global_load_dwordx4 v[70:73], v69, s[16:17] offset:224
	s_waitcnt vmcnt(12) lgkmcnt(12)
	v_mul_f64 v[74:75], v[24:25], v[80:81]
	v_mul_f64 v[80:81], v[22:23], v[80:81]
	v_fma_f64 v[22:23], v[22:23], v[78:79], -v[74:75]
	v_fmac_f64_e32 v[80:81], v[24:25], v[78:79]
	s_waitcnt vmcnt(11) lgkmcnt(11)
	v_mul_f64 v[24:25], v[32:33], v[84:85]
	v_mul_f64 v[74:75], v[30:31], v[84:85]
	s_waitcnt vmcnt(10) lgkmcnt(10)
	v_mul_f64 v[78:79], v[40:41], v[88:89]
	v_mul_f64 v[84:85], v[38:39], v[88:89]
	v_fma_f64 v[24:25], v[30:31], v[82:83], -v[24:25]
	v_fmac_f64_e32 v[74:75], v[32:33], v[82:83]
	s_waitcnt vmcnt(9) lgkmcnt(9)
	v_mul_f64 v[30:31], v[48:49], v[92:93]
	v_mul_f64 v[32:33], v[46:47], v[92:93]
	;; [unrolled: 8-line block ×3, first 2 shown]
	s_waitcnt vmcnt(6) lgkmcnt(6)
	v_mul_f64 v[86:87], v[36:37], v[106:107]
	v_fma_f64 v[30:31], v[46:47], v[90:91], -v[30:31]
	v_fmac_f64_e32 v[32:33], v[48:49], v[90:91]
	s_waitcnt vmcnt(5) lgkmcnt(5)
	v_mul_f64 v[46:47], v[28:29], v[110:111]
	v_mul_f64 v[48:49], v[26:27], v[110:111]
	s_waitcnt vmcnt(3) lgkmcnt(4)
	v_mul_f64 v[90:91], v[20:21], v[118:119]
	v_fma_f64 v[50:51], v[50:51], v[94:95], -v[82:83]
	v_fmac_f64_e32 v[88:89], v[52:53], v[94:95]
	s_waitcnt lgkmcnt(3)
	v_mul_f64 v[52:53], v[16:17], v[114:115]
	v_mul_f64 v[82:83], v[14:15], v[114:115]
	v_fma_f64 v[40:41], v[42:43], v[100:101], -v[40:41]
	v_fmac_f64_e32 v[78:79], v[44:45], v[100:101]
	v_mul_f64 v[92:93], v[34:35], v[106:107]
	v_mul_f64 v[96:97], v[18:19], v[118:119]
	v_fma_f64 v[34:35], v[34:35], v[104:105], -v[86:87]
	v_fma_f64 v[26:27], v[26:27], v[108:109], -v[46:47]
	v_fmac_f64_e32 v[48:49], v[28:29], v[108:109]
	v_fma_f64 v[18:19], v[18:19], v[116:117], -v[90:91]
	v_fma_f64 v[14:15], v[14:15], v[112:113], -v[52:53]
	v_fmac_f64_e32 v[82:83], v[16:17], v[112:113]
	v_fmac_f64_e32 v[92:93], v[36:37], v[104:105]
	;; [unrolled: 1-line block ×3, first 2 shown]
	v_add_f64 v[20:21], v[2:3], -v[40:41]
	v_add_f64 v[28:29], v[4:5], -v[78:79]
	;; [unrolled: 1-line block ×7, first 2 shown]
	v_fma_f64 v[24:25], v[24:25], 2.0, -v[14:15]
	v_fma_f64 v[40:41], v[74:75], 2.0, -v[36:37]
	v_add_f64 v[36:37], v[20:21], -v[36:37]
	v_add_f64 v[14:15], v[28:29], v[14:15]
	v_fma_f64 v[2:3], v[2:3], 2.0, -v[20:21]
	v_fma_f64 v[4:5], v[4:5], 2.0, -v[28:29]
	;; [unrolled: 1-line block ×6, first 2 shown]
	v_add_f64 v[24:25], v[2:3], -v[24:25]
	v_add_f64 v[40:41], v[4:5], -v[40:41]
	s_mov_b32 s16, 0xcf328d46
	v_fma_f64 v[4:5], v[4:5], 2.0, -v[40:41]
	s_mov_b32 s17, 0xbfed906b
	v_fma_f64 v[2:3], v[2:3], 2.0, -v[24:25]
	s_mov_b32 s22, s16
	s_waitcnt vmcnt(2) lgkmcnt(2)
	v_mul_f64 v[94:95], v[56:57], v[8:9]
	v_mul_f64 v[8:9], v[54:55], v[8:9]
	s_waitcnt vmcnt(1) lgkmcnt(1)
	v_mul_f64 v[42:43], v[60:61], v[12:13]
	v_mul_f64 v[12:13], v[58:59], v[12:13]
	;; [unrolled: 3-line block ×3, first 2 shown]
	v_fma_f64 v[16:17], v[54:55], v[6:7], -v[94:95]
	v_fmac_f64_e32 v[8:9], v[56:57], v[6:7]
	v_fma_f64 v[6:7], v[58:59], v[10:11], -v[42:43]
	v_fmac_f64_e32 v[12:13], v[60:61], v[10:11]
	v_fmac_f64_e32 v[72:73], v[64:65], v[70:71]
	v_fma_f64 v[10:11], v[62:63], v[70:71], -v[44:45]
	v_add_f64 v[42:43], v[76:77], -v[48:49]
	v_add_f64 v[6:7], v[30:31], -v[6:7]
	;; [unrolled: 1-line block ×5, first 2 shown]
	v_fma_f64 v[30:31], v[30:31], 2.0, -v[6:7]
	v_fma_f64 v[32:33], v[32:33], 2.0, -v[12:13]
	v_add_f64 v[48:49], v[120:121], -v[92:93]
	v_add_f64 v[16:17], v[38:39], -v[16:17]
	v_fma_f64 v[54:55], v[84:85], 2.0, -v[8:9]
	v_add_f64 v[56:57], v[80:81], -v[96:97]
	v_add_f64 v[10:11], v[50:51], -v[10:11]
	v_fma_f64 v[62:63], v[88:89], 2.0, -v[60:61]
	v_add_f64 v[12:13], v[26:27], -v[12:13]
	v_add_f64 v[6:7], v[42:43], v[6:7]
	v_add_f64 v[8:9], v[34:35], -v[8:9]
	v_add_f64 v[60:61], v[18:19], -v[60:61]
	v_fma_f64 v[44:45], v[122:123], 2.0, -v[26:27]
	v_fma_f64 v[46:47], v[76:77], 2.0, -v[42:43]
	;; [unrolled: 1-line block ×6, first 2 shown]
	v_add_f64 v[16:17], v[48:49], v[16:17]
	v_fma_f64 v[34:35], v[34:35], 2.0, -v[8:9]
	v_add_f64 v[10:11], v[56:57], v[10:11]
	v_fma_f64 v[18:19], v[18:19], 2.0, -v[60:61]
	v_fma_f64 v[52:53], v[120:121], 2.0, -v[48:49]
	v_fma_f64 v[58:59], v[80:81], 2.0, -v[56:57]
	v_fma_f64 v[48:49], v[48:49], 2.0, -v[16:17]
	v_fma_f64 v[56:57], v[56:57], 2.0, -v[10:11]
	v_fma_f64 v[72:73], s[8:9], v[26:27], v[20:21]
	v_fma_f64 v[74:75], s[8:9], v[42:43], v[28:29]
	;; [unrolled: 1-line block ×3, first 2 shown]
	v_add_f64 v[32:33], v[46:47], -v[32:33]
	v_add_f64 v[38:39], v[0:1], -v[38:39]
	;; [unrolled: 1-line block ×3, first 2 shown]
	v_fmac_f64_e32 v[72:73], s[8:9], v[42:43]
	v_fmac_f64_e32 v[74:75], s[10:11], v[26:27]
	v_fma_f64 v[82:83], s[8:9], v[56:57], v[48:49]
	v_fmac_f64_e32 v[80:81], s[8:9], v[56:57]
	v_add_f64 v[30:31], v[44:45], -v[30:31]
	v_fma_f64 v[46:47], v[46:47], 2.0, -v[32:33]
	v_add_f64 v[54:55], v[52:53], -v[54:55]
	v_add_f64 v[50:51], v[22:23], -v[50:51]
	v_fma_f64 v[58:59], v[58:59], 2.0, -v[62:63]
	v_fma_f64 v[20:21], v[20:21], 2.0, -v[72:73]
	;; [unrolled: 1-line block ×3, first 2 shown]
	v_add_f64 v[28:29], v[24:25], -v[32:33]
	v_fma_f64 v[78:79], s[10:11], v[6:7], v[14:15]
	v_fmac_f64_e32 v[82:83], s[10:11], v[18:19]
	v_fma_f64 v[18:19], v[34:35], 2.0, -v[80:81]
	v_add_f64 v[62:63], v[38:39], -v[62:63]
	v_fma_f64 v[88:89], s[10:11], v[10:11], v[16:17]
	v_fma_f64 v[44:45], v[44:45], 2.0, -v[30:31]
	v_fma_f64 v[0:1], v[0:1], 2.0, -v[38:39]
	v_add_f64 v[70:71], v[4:5], -v[46:47]
	v_add_f64 v[30:31], v[40:41], v[30:31]
	v_fma_f64 v[24:25], v[24:25], 2.0, -v[28:29]
	v_fmac_f64_e32 v[78:79], s[10:11], v[12:13]
	v_fma_f64 v[42:43], v[48:49], 2.0, -v[82:83]
	v_add_f64 v[84:85], v[54:55], v[50:51]
	v_fma_f64 v[46:47], v[38:39], 2.0, -v[62:63]
	v_fma_f64 v[86:87], s[10:11], v[60:61], v[8:9]
	v_fmac_f64_e32 v[88:89], s[10:11], v[60:61]
	v_fma_f64 v[38:39], s[16:17], v[18:19], v[20:21]
	v_fma_f64 v[32:33], v[40:41], 2.0, -v[30:31]
	v_fma_f64 v[76:77], s[10:11], v[12:13], v[36:37]
	v_fma_f64 v[12:13], v[14:15], 2.0, -v[78:79]
	v_fma_f64 v[48:49], v[54:55], 2.0, -v[84:85]
	v_fmac_f64_e32 v[86:87], s[8:9], v[10:11]
	v_fma_f64 v[10:11], v[16:17], 2.0, -v[88:89]
	v_fma_f64 v[40:41], s[16:17], v[42:43], v[26:27]
	v_fmac_f64_e32 v[38:39], s[18:19], v[42:43]
	v_fma_f64 v[42:43], s[8:9], v[46:47], v[24:25]
	v_fma_f64 v[22:23], v[22:23], 2.0, -v[50:51]
	v_add_f64 v[64:65], v[2:3], -v[44:45]
	v_fma_f64 v[8:9], v[8:9], 2.0, -v[86:87]
	v_fma_f64 v[44:45], s[8:9], v[48:49], v[32:33]
	v_fmac_f64_e32 v[42:43], s[8:9], v[48:49]
	v_fma_f64 v[48:49], s[18:19], v[10:11], v[12:13]
	v_fma_f64 v[52:53], v[52:53], 2.0, -v[54:55]
	v_add_f64 v[22:23], v[0:1], -v[22:23]
	v_fmac_f64_e32 v[48:49], s[22:23], v[8:9]
	v_fma_f64 v[2:3], v[2:3], 2.0, -v[64:65]
	v_fmac_f64_e32 v[76:77], s[8:9], v[6:7]
	v_add_f64 v[58:59], v[52:53], -v[58:59]
	v_fma_f64 v[0:1], v[0:1], 2.0, -v[22:23]
	v_fma_f64 v[16:17], v[12:13], 2.0, -v[48:49]
	v_mul_lo_u32 v12, v67, v68
	v_fma_f64 v[4:5], v[4:5], 2.0, -v[70:71]
	v_fma_f64 v[6:7], v[36:37], 2.0, -v[76:77]
	;; [unrolled: 1-line block ×3, first 2 shown]
	v_add_f64 v[34:35], v[2:3], -v[0:1]
	v_add_f64 v[50:51], v[64:65], -v[58:59]
	v_fma_f64 v[58:59], s[10:11], v[62:63], v[28:29]
	v_lshrrev_b32_e32 v1, 1, v12
	v_add_f64 v[36:37], v[4:5], -v[14:15]
	v_fmac_f64_e32 v[44:45], s[10:11], v[46:47]
	v_fma_f64 v[46:47], s[18:19], v[8:9], v[6:7]
	v_fmac_f64_e32 v[58:59], s[8:9], v[84:85]
	v_and_b32_e32 v0, 31, v12
	s_add_i32 s8, 0, 0x7500
	v_and_b32_e32 v1, 0x1f0, v1
	v_fma_f64 v[92:93], v[4:5], 2.0, -v[36:37]
	v_fmac_f64_e32 v[46:47], s[16:17], v[10:11]
	v_lshl_add_u32 v0, v0, 4, 0
	v_add_u32_e32 v4, s8, v1
	v_fma_f64 v[90:91], v[2:3], 2.0, -v[34:35]
	v_fma_f64 v[14:15], v[6:7], 2.0, -v[46:47]
	ds_read_b128 v[0:3], v0 offset:29952
	ds_read_b128 v[4:7], v4 offset:512
	v_fma_f64 v[56:57], s[20:21], v[82:83], v[74:75]
	v_fmac_f64_e32 v[56:57], s[22:23], v[80:81]
	v_mul_lo_u32 v67, v68, 13
	v_fma_f64 v[100:101], v[24:25], 2.0, -v[42:43]
	s_waitcnt lgkmcnt(0)
	v_mul_f64 v[8:9], v[2:3], v[6:7]
	v_fma_f64 v[8:9], v[0:1], v[4:5], -v[8:9]
	v_mul_f64 v[10:11], v[0:1], v[6:7]
	v_lshrrev_b32_e32 v0, 6, v12
	v_and_b32_e32 v0, 0x1f0, v0
	v_add_u32_e32 v0, s8, v0
	v_fmac_f64_e32 v[10:11], v[2:3], v[4:5]
	ds_read_b128 v[0:3], v0 offset:1024
	v_fma_f64 v[24:25], v[74:75], 2.0, -v[56:57]
	v_add_u32_e32 v74, v12, v67
	v_and_b32_e32 v4, 31, v74
	v_lshl_add_u32 v4, v4, 4, 0
	ds_read_b128 v[4:7], v4 offset:29952
	s_waitcnt lgkmcnt(1)
	v_mul_f64 v[12:13], v[10:11], v[2:3]
	v_fma_f64 v[12:13], v[0:1], v[8:9], -v[12:13]
	v_mul_f64 v[2:3], v[8:9], v[2:3]
	v_lshrrev_b32_e32 v8, 1, v74
	v_fmac_f64_e32 v[2:3], v[0:1], v[10:11]
	v_and_b32_e32 v8, 0x1f0, v8
	v_mul_f64 v[0:1], v[2:3], v[92:93]
	v_mul_f64 v[2:3], v[2:3], v[90:91]
	v_add_u32_e32 v8, s8, v8
	v_fma_f64 v[0:1], v[12:13], v[90:91], -v[0:1]
	v_fmac_f64_e32 v[2:3], v[12:13], v[92:93]
	ds_read_b128 v[8:11], v8 offset:512
	v_lshrrev_b32_e32 v12, 6, v74
	v_and_b32_e32 v12, 0x1f0, v12
	v_add_f64 v[52:53], v[70:71], v[22:23]
	v_add_u32_e32 v12, s8, v12
	v_fma_f64 v[94:95], v[20:21], 2.0, -v[38:39]
	v_fma_f64 v[20:21], v[70:71], 2.0, -v[52:53]
	ds_read_b128 v[68:71], v12 offset:1024
	s_waitcnt lgkmcnt(1)
	v_mul_f64 v[12:13], v[6:7], v[10:11]
	v_fma_f64 v[12:13], v[4:5], v[8:9], -v[12:13]
	v_mul_f64 v[4:5], v[4:5], v[10:11]
	v_fma_f64 v[54:55], s[20:21], v[80:81], v[72:73]
	v_fmac_f64_e32 v[4:5], v[6:7], v[8:9]
	v_fmac_f64_e32 v[54:55], s[16:17], v[82:83]
	s_waitcnt lgkmcnt(0)
	v_mul_f64 v[6:7], v[4:5], v[70:71]
	v_fma_f64 v[22:23], v[72:73], 2.0, -v[54:55]
	v_fma_f64 v[72:73], v[68:69], v[12:13], -v[6:7]
	v_mul_f64 v[6:7], v[12:13], v[70:71]
	v_add_u32_e32 v74, v74, v67
	v_fmac_f64_e32 v[6:7], v[68:69], v[4:5]
	v_and_b32_e32 v4, 31, v74
	v_lshrrev_b32_e32 v5, 1, v74
	v_lshl_add_u32 v4, v4, 4, 0
	v_and_b32_e32 v5, 0x1f0, v5
	v_add_u32_e32 v5, s8, v5
	ds_read_b128 v[8:11], v4 offset:29952
	ds_read_b128 v[68:71], v5 offset:512
	v_fmac_f64_e32 v[40:41], s[20:21], v[18:19]
	v_fma_f64 v[96:97], v[26:27], 2.0, -v[40:41]
	v_mul_f64 v[4:5], v[96:97], v[6:7]
	v_mul_f64 v[6:7], v[94:95], v[6:7]
	s_waitcnt lgkmcnt(0)
	v_mul_f64 v[12:13], v[10:11], v[70:71]
	v_fma_f64 v[4:5], v[94:95], v[72:73], -v[4:5]
	v_fmac_f64_e32 v[6:7], v[96:97], v[72:73]
	v_fma_f64 v[12:13], v[8:9], v[68:69], -v[12:13]
	v_mul_f64 v[72:73], v[8:9], v[70:71]
	v_lshrrev_b32_e32 v8, 6, v74
	v_and_b32_e32 v8, 0x1f0, v8
	v_add_u32_e32 v8, s8, v8
	v_fmac_f64_e32 v[72:73], v[10:11], v[68:69]
	ds_read_b128 v[8:11], v8 offset:1024
	v_add_u32_e32 v82, v74, v67
	v_and_b32_e32 v68, 31, v82
	v_lshl_add_u32 v68, v68, 4, 0
	ds_read_b128 v[68:71], v68 offset:29952
	s_waitcnt lgkmcnt(1)
	v_mul_f64 v[74:75], v[72:73], v[10:11]
	v_fma_f64 v[74:75], v[8:9], v[12:13], -v[74:75]
	v_mul_f64 v[10:11], v[12:13], v[10:11]
	v_lshrrev_b32_e32 v12, 1, v82
	v_fma_f64 v[102:103], v[32:33], 2.0, -v[44:45]
	v_fmac_f64_e32 v[10:11], v[8:9], v[72:73]
	v_and_b32_e32 v12, 0x1f0, v12
	v_mul_f64 v[8:9], v[102:103], v[10:11]
	v_mul_f64 v[10:11], v[100:101], v[10:11]
	v_add_u32_e32 v12, s8, v12
	v_fma_f64 v[60:61], s[10:11], v[84:85], v[30:31]
	v_fma_f64 v[8:9], v[100:101], v[74:75], -v[8:9]
	v_fmac_f64_e32 v[10:11], v[102:103], v[74:75]
	ds_read_b128 v[72:75], v12 offset:512
	v_lshrrev_b32_e32 v12, 6, v82
	v_fma_f64 v[18:19], v[64:65], 2.0, -v[50:51]
	v_fmac_f64_e32 v[60:61], s[10:11], v[62:63]
	v_fma_f64 v[62:63], s[22:23], v[86:87], v[76:77]
	v_fma_f64 v[64:65], s[22:23], v[88:89], v[78:79]
	v_and_b32_e32 v12, 0x1f0, v12
	v_fmac_f64_e32 v[62:63], s[18:19], v[88:89]
	v_fmac_f64_e32 v[64:65], s[20:21], v[86:87]
	v_add_u32_e32 v12, s8, v12
	v_fma_f64 v[26:27], v[28:29], 2.0, -v[58:59]
	v_fma_f64 v[28:29], v[30:31], 2.0, -v[60:61]
	;; [unrolled: 1-line block ×4, first 2 shown]
	ds_read_b128 v[76:79], v12 offset:1024
	s_waitcnt lgkmcnt(1)
	v_mul_f64 v[12:13], v[70:71], v[74:75]
	v_fma_f64 v[12:13], v[68:69], v[72:73], -v[12:13]
	v_mul_f64 v[68:69], v[68:69], v[74:75]
	v_fmac_f64_e32 v[68:69], v[70:71], v[72:73]
	s_waitcnt lgkmcnt(0)
	v_mul_f64 v[70:71], v[68:69], v[78:79]
	v_add_u32_e32 v82, v82, v67
	v_fma_f64 v[80:81], v[76:77], v[12:13], -v[70:71]
	v_mul_f64 v[78:79], v[12:13], v[78:79]
	v_and_b32_e32 v12, 31, v82
	v_lshrrev_b32_e32 v13, 1, v82
	v_lshl_add_u32 v12, v12, 4, 0
	v_and_b32_e32 v13, 0x1f0, v13
	v_fmac_f64_e32 v[78:79], v[76:77], v[68:69]
	v_add_u32_e32 v13, s8, v13
	ds_read_b128 v[68:71], v12 offset:29952
	ds_read_b128 v[72:75], v13 offset:512
	v_mul_f64 v[12:13], v[16:17], v[78:79]
	v_fma_f64 v[12:13], v[14:15], v[80:81], -v[12:13]
	v_mul_f64 v[14:15], v[14:15], v[78:79]
	v_fmac_f64_e32 v[14:15], v[16:17], v[80:81]
	s_waitcnt lgkmcnt(0)
	v_mul_f64 v[16:17], v[70:71], v[74:75]
	v_fma_f64 v[16:17], v[68:69], v[72:73], -v[16:17]
	v_mul_f64 v[76:77], v[68:69], v[74:75]
	v_lshrrev_b32_e32 v68, 6, v82
	v_and_b32_e32 v68, 0x1f0, v68
	v_add_u32_e32 v68, s8, v68
	v_fmac_f64_e32 v[76:77], v[70:71], v[72:73]
	ds_read_b128 v[68:71], v68 offset:1024
	v_add_u32_e32 v82, v82, v67
	v_and_b32_e32 v72, 31, v82
	v_lshl_add_u32 v72, v72, 4, 0
	ds_read_b128 v[72:75], v72 offset:29952
	s_waitcnt lgkmcnt(1)
	v_mul_f64 v[78:79], v[76:77], v[70:71]
	v_mul_f64 v[70:71], v[16:17], v[70:71]
	v_fmac_f64_e32 v[70:71], v[68:69], v[76:77]
	v_fma_f64 v[78:79], v[68:69], v[16:17], -v[78:79]
	v_mul_f64 v[16:17], v[20:21], v[70:71]
	v_fma_f64 v[16:17], v[18:19], v[78:79], -v[16:17]
	v_mul_f64 v[18:19], v[18:19], v[70:71]
	v_fmac_f64_e32 v[18:19], v[20:21], v[78:79]
	v_lshrrev_b32_e32 v20, 1, v82
	v_and_b32_e32 v20, 0x1f0, v20
	v_add_u32_e32 v20, s8, v20
	ds_read_b128 v[68:71], v20 offset:512
	v_lshrrev_b32_e32 v20, 6, v82
	v_and_b32_e32 v20, 0x1f0, v20
	v_add_u32_e32 v20, s8, v20
	ds_read_b128 v[76:79], v20 offset:1024
	s_waitcnt lgkmcnt(1)
	v_mul_f64 v[20:21], v[74:75], v[70:71]
	v_mul_f64 v[70:71], v[72:73], v[70:71]
	v_fmac_f64_e32 v[70:71], v[74:75], v[68:69]
	v_fma_f64 v[20:21], v[72:73], v[68:69], -v[20:21]
	s_waitcnt lgkmcnt(0)
	v_mul_f64 v[68:69], v[70:71], v[78:79]
	v_add_u32_e32 v82, v82, v67
	v_fma_f64 v[80:81], v[76:77], v[20:21], -v[68:69]
	v_mul_f64 v[78:79], v[20:21], v[78:79]
	v_and_b32_e32 v20, 31, v82
	v_lshrrev_b32_e32 v21, 1, v82
	v_lshl_add_u32 v20, v20, 4, 0
	v_and_b32_e32 v21, 0x1f0, v21
	v_fmac_f64_e32 v[78:79], v[76:77], v[70:71]
	v_add_u32_e32 v21, s8, v21
	ds_read_b128 v[68:71], v20 offset:29952
	ds_read_b128 v[72:75], v21 offset:512
	v_mul_f64 v[20:21], v[24:25], v[78:79]
	v_fma_f64 v[20:21], v[22:23], v[80:81], -v[20:21]
	v_mul_f64 v[22:23], v[22:23], v[78:79]
	v_fmac_f64_e32 v[22:23], v[24:25], v[80:81]
	s_waitcnt lgkmcnt(0)
	v_mul_f64 v[24:25], v[70:71], v[74:75]
	v_fma_f64 v[24:25], v[68:69], v[72:73], -v[24:25]
	v_mul_f64 v[76:77], v[68:69], v[74:75]
	v_lshrrev_b32_e32 v68, 6, v82
	v_and_b32_e32 v68, 0x1f0, v68
	v_add_u32_e32 v68, s8, v68
	v_fmac_f64_e32 v[76:77], v[70:71], v[72:73]
	ds_read_b128 v[68:71], v68 offset:1024
	v_add_u32_e32 v82, v82, v67
	v_and_b32_e32 v72, 31, v82
	v_lshl_add_u32 v72, v72, 4, 0
	ds_read_b128 v[72:75], v72 offset:29952
	s_waitcnt lgkmcnt(1)
	v_mul_f64 v[78:79], v[76:77], v[70:71]
	v_mul_f64 v[70:71], v[24:25], v[70:71]
	v_fmac_f64_e32 v[70:71], v[68:69], v[76:77]
	v_fma_f64 v[78:79], v[68:69], v[24:25], -v[78:79]
	v_mul_f64 v[24:25], v[28:29], v[70:71]
	v_fma_f64 v[24:25], v[26:27], v[78:79], -v[24:25]
	v_mul_f64 v[26:27], v[26:27], v[70:71]
	v_fmac_f64_e32 v[26:27], v[28:29], v[78:79]
	v_lshrrev_b32_e32 v28, 1, v82
	v_and_b32_e32 v28, 0x1f0, v28
	v_add_u32_e32 v28, s8, v28
	ds_read_b128 v[68:71], v28 offset:512
	v_lshrrev_b32_e32 v28, 6, v82
	v_and_b32_e32 v28, 0x1f0, v28
	v_add_u32_e32 v28, s8, v28
	ds_read_b128 v[76:79], v28 offset:1024
	s_waitcnt lgkmcnt(1)
	v_mul_f64 v[28:29], v[74:75], v[70:71]
	v_mul_f64 v[70:71], v[72:73], v[70:71]
	v_fmac_f64_e32 v[70:71], v[74:75], v[68:69]
	v_fma_f64 v[28:29], v[72:73], v[68:69], -v[28:29]
	;; [unrolled: 52-line block ×5, first 2 shown]
	s_waitcnt lgkmcnt(0)
	v_mul_f64 v[68:69], v[70:71], v[78:79]
	v_add_u32_e32 v82, v82, v67
	v_fma_f64 v[80:81], v[76:77], v[52:53], -v[68:69]
	v_mul_f64 v[78:79], v[52:53], v[78:79]
	v_and_b32_e32 v52, 31, v82
	v_lshrrev_b32_e32 v53, 1, v82
	v_lshl_add_u32 v52, v52, 4, 0
	v_and_b32_e32 v53, 0x1f0, v53
	v_fmac_f64_e32 v[78:79], v[76:77], v[70:71]
	v_add_u32_e32 v53, s8, v53
	ds_read_b128 v[68:71], v52 offset:29952
	ds_read_b128 v[72:75], v53 offset:512
	v_mul_f64 v[52:53], v[56:57], v[78:79]
	v_fma_f64 v[52:53], v[54:55], v[80:81], -v[52:53]
	v_mul_f64 v[54:55], v[54:55], v[78:79]
	v_fmac_f64_e32 v[54:55], v[56:57], v[80:81]
	s_waitcnt lgkmcnt(0)
	v_mul_f64 v[56:57], v[70:71], v[74:75]
	v_fma_f64 v[56:57], v[68:69], v[72:73], -v[56:57]
	v_mul_f64 v[76:77], v[68:69], v[74:75]
	v_lshrrev_b32_e32 v68, 6, v82
	v_and_b32_e32 v68, 0x1f0, v68
	v_add_u32_e32 v68, s8, v68
	v_fmac_f64_e32 v[76:77], v[70:71], v[72:73]
	ds_read_b128 v[68:71], v68 offset:1024
	v_add_u32_e32 v67, v82, v67
	v_and_b32_e32 v72, 31, v67
	v_lshl_add_u32 v72, v72, 4, 0
	ds_read_b128 v[72:75], v72 offset:29952
	s_waitcnt lgkmcnt(1)
	v_mul_f64 v[78:79], v[76:77], v[70:71]
	v_mul_f64 v[70:71], v[56:57], v[70:71]
	v_fmac_f64_e32 v[70:71], v[68:69], v[76:77]
	v_fma_f64 v[78:79], v[68:69], v[56:57], -v[78:79]
	v_mul_f64 v[56:57], v[60:61], v[70:71]
	v_fma_f64 v[56:57], v[58:59], v[78:79], -v[56:57]
	v_mul_f64 v[58:59], v[58:59], v[70:71]
	v_fmac_f64_e32 v[58:59], v[60:61], v[78:79]
	v_lshrrev_b32_e32 v60, 1, v67
	v_and_b32_e32 v60, 0x1f0, v60
	v_add_u32_e32 v60, s8, v60
	ds_read_b128 v[68:71], v60 offset:512
	v_lshrrev_b32_e32 v60, 6, v67
	v_and_b32_e32 v60, 0x1f0, v60
	v_add_u32_e32 v60, s8, v60
	ds_read_b128 v[76:79], v60 offset:1024
	s_waitcnt lgkmcnt(1)
	v_mul_f64 v[60:61], v[74:75], v[70:71]
	v_fma_f64 v[60:61], v[72:73], v[68:69], -v[60:61]
	v_mul_f64 v[70:71], v[72:73], v[70:71]
	v_fmac_f64_e32 v[70:71], v[74:75], v[68:69]
	s_waitcnt lgkmcnt(0)
	v_mul_f64 v[72:73], v[60:61], v[78:79]
	v_mul_f64 v[68:69], v[70:71], v[78:79]
	v_fmac_f64_e32 v[72:73], v[76:77], v[70:71]
	v_fma_f64 v[68:69], v[76:77], v[60:61], -v[68:69]
	v_mul_f64 v[60:61], v[64:65], v[72:73]
	v_fma_f64 v[60:61], v[62:63], v[68:69], -v[60:61]
	v_mul_f64 v[62:63], v[62:63], v[72:73]
	v_fmac_f64_e32 v[62:63], v[64:65], v[68:69]
	s_and_b64 s[10:11], s[2:3], vcc
	v_add_u32_e32 v68, 13, v98
	v_add_u32_e32 v67, 26, v98
	;; [unrolled: 1-line block ×4, first 2 shown]
	s_and_saveexec_b64 s[8:9], s[10:11]
	s_cbranch_execz .LBB0_20
; %bb.19:
	v_mad_u64_u32 v[70:71], s[10:11], s14, v66, 0
	v_mov_b32_e32 v72, v71
	v_mad_u64_u32 v[72:73], s[10:11], s15, v66, v[72:73]
	v_mov_b32_e32 v71, v72
	;; [unrolled: 2-line block ×3, first 2 shown]
	v_mad_u64_u32 v[74:75], s[10:11], s13, v98, v[74:75]
	s_lshl_b64 s[10:11], s[6:7], 4
	s_add_u32 s10, s4, s10
	s_addc_u32 s11, s5, s11
	v_mov_b32_e32 v73, v74
	v_lshl_add_u64 v[70:71], v[70:71], 4, s[10:11]
	v_lshl_add_u64 v[72:73], v[72:73], 4, v[70:71]
	global_store_dwordx4 v[72:73], v[0:3], off
	v_mad_u64_u32 v[72:73], s[10:11], s12, v68, 0
	v_mov_b32_e32 v74, v73
	v_mad_u64_u32 v[74:75], s[10:11], s13, v68, v[74:75]
	v_mov_b32_e32 v73, v74
	v_lshl_add_u64 v[72:73], v[72:73], 4, v[70:71]
	global_store_dwordx4 v[72:73], v[4:7], off
	v_mad_u64_u32 v[72:73], s[10:11], s12, v67, 0
	v_mov_b32_e32 v74, v73
	v_mad_u64_u32 v[74:75], s[10:11], s13, v67, v[74:75]
	v_mov_b32_e32 v73, v74
	;; [unrolled: 6-line block ×4, first 2 shown]
	v_lshl_add_u64 v[72:73], v[72:73], 4, v[70:71]
	v_add_u32_e32 v69, 0x41, v98
	global_store_dwordx4 v[72:73], v[16:19], off
	v_mad_u64_u32 v[72:73], s[10:11], s12, v69, 0
	v_mov_b32_e32 v74, v73
	v_mad_u64_u32 v[74:75], s[10:11], s13, v69, v[74:75]
	v_mov_b32_e32 v73, v74
	v_lshl_add_u64 v[72:73], v[72:73], 4, v[70:71]
	v_add_u32_e32 v69, 0x4e, v98
	global_store_dwordx4 v[72:73], v[20:23], off
	v_mad_u64_u32 v[72:73], s[10:11], s12, v69, 0
	v_mov_b32_e32 v74, v73
	v_mad_u64_u32 v[74:75], s[10:11], s13, v69, v[74:75]
	v_mov_b32_e32 v73, v74
	;; [unrolled: 7-line block ×11, first 2 shown]
	v_lshl_add_u64 v[70:71], v[72:73], 4, v[70:71]
	global_store_dwordx4 v[70:71], v[60:63], off
.LBB0_20:
	s_or_b64 exec, exec, s[8:9]
	s_xor_b64 s[8:9], vcc, -1
	s_and_b64 s[0:1], s[2:3], s[0:1]
	s_and_b64 s[0:1], s[8:9], s[0:1]
	s_and_saveexec_b64 s[2:3], s[0:1]
	s_cbranch_execz .LBB0_22
; %bb.21:
	v_mad_u64_u32 v[70:71], s[0:1], s14, v66, 0
	v_mov_b32_e32 v72, v71
	v_mad_u64_u32 v[72:73], s[0:1], s15, v66, v[72:73]
	v_mov_b32_e32 v71, v72
	;; [unrolled: 2-line block ×3, first 2 shown]
	v_mad_u64_u32 v[74:75], s[0:1], s13, v98, v[66:67]
	s_lshl_b64 s[0:1], s[6:7], 4
	s_add_u32 s0, s4, s0
	s_addc_u32 s1, s5, s1
	v_mov_b32_e32 v73, v74
	v_lshl_add_u64 v[70:71], v[70:71], 4, s[0:1]
	v_lshl_add_u64 v[72:73], v[72:73], 4, v[70:71]
	global_store_dwordx4 v[72:73], v[0:3], off
	s_nop 1
	v_mad_u64_u32 v[0:1], s[0:1], s12, v68, 0
	v_mov_b32_e32 v2, v1
	v_mad_u64_u32 v[2:3], s[0:1], s13, v68, v[2:3]
	v_mov_b32_e32 v1, v2
	v_lshl_add_u64 v[0:1], v[0:1], 4, v[70:71]
	global_store_dwordx4 v[0:1], v[4:7], off
	v_mad_u64_u32 v[0:1], s[0:1], s12, v67, 0
	v_mov_b32_e32 v2, v1
	v_mad_u64_u32 v[2:3], s[0:1], s13, v67, v[2:3]
	v_mov_b32_e32 v1, v2
	v_lshl_add_u64 v[0:1], v[0:1], 4, v[70:71]
	global_store_dwordx4 v[0:1], v[8:11], off
	v_mad_u64_u32 v[0:1], s[0:1], s12, v65, 0
	v_mov_b32_e32 v2, v1
	v_mad_u64_u32 v[2:3], s[0:1], s13, v65, v[2:3]
	v_mov_b32_e32 v1, v2
	v_lshl_add_u64 v[0:1], v[0:1], 4, v[70:71]
	global_store_dwordx4 v[0:1], v[12:15], off
	v_mad_u64_u32 v[0:1], s[0:1], s12, v64, 0
	v_mov_b32_e32 v2, v1
	v_mad_u64_u32 v[2:3], s[0:1], s13, v64, v[2:3]
	v_mov_b32_e32 v1, v2
	v_lshl_add_u64 v[0:1], v[0:1], 4, v[70:71]
	v_add_u32_e32 v3, 0x41, v98
	global_store_dwordx4 v[0:1], v[16:19], off
	v_mad_u64_u32 v[0:1], s[0:1], s12, v3, 0
	v_mov_b32_e32 v2, v1
	v_mad_u64_u32 v[2:3], s[0:1], s13, v3, v[2:3]
	v_mov_b32_e32 v1, v2
	v_lshl_add_u64 v[0:1], v[0:1], 4, v[70:71]
	v_add_u32_e32 v3, 0x4e, v98
	global_store_dwordx4 v[0:1], v[20:23], off
	;; [unrolled: 7-line block ×11, first 2 shown]
	v_mad_u64_u32 v[0:1], s[0:1], s12, v3, 0
	v_mov_b32_e32 v2, v1
	v_mad_u64_u32 v[2:3], s[0:1], s13, v3, v[2:3]
	v_mov_b32_e32 v1, v2
	v_lshl_add_u64 v[0:1], v[0:1], 4, v[70:71]
	global_store_dwordx4 v[0:1], v[60:63], off
.LBB0_22:
	s_endpgm
	.section	.rodata,"a",@progbits
	.p2align	6, 0x0
	.amdhsa_kernel fft_rtc_fwd_len208_factors_13_16_wgs_144_tpt_16_dp_ip_CI_sbcc_twdbase5_3step_dirReg
		.amdhsa_group_segment_fixed_size 0
		.amdhsa_private_segment_fixed_size 0
		.amdhsa_kernarg_size 96
		.amdhsa_user_sgpr_count 2
		.amdhsa_user_sgpr_dispatch_ptr 0
		.amdhsa_user_sgpr_queue_ptr 0
		.amdhsa_user_sgpr_kernarg_segment_ptr 1
		.amdhsa_user_sgpr_dispatch_id 0
		.amdhsa_user_sgpr_kernarg_preload_length 0
		.amdhsa_user_sgpr_kernarg_preload_offset 0
		.amdhsa_user_sgpr_private_segment_size 0
		.amdhsa_uses_dynamic_stack 0
		.amdhsa_enable_private_segment 0
		.amdhsa_system_sgpr_workgroup_id_x 1
		.amdhsa_system_sgpr_workgroup_id_y 0
		.amdhsa_system_sgpr_workgroup_id_z 0
		.amdhsa_system_sgpr_workgroup_info 0
		.amdhsa_system_vgpr_workitem_id 0
		.amdhsa_next_free_vgpr 128
		.amdhsa_next_free_sgpr 50
		.amdhsa_accum_offset 128
		.amdhsa_reserve_vcc 1
		.amdhsa_float_round_mode_32 0
		.amdhsa_float_round_mode_16_64 0
		.amdhsa_float_denorm_mode_32 3
		.amdhsa_float_denorm_mode_16_64 3
		.amdhsa_dx10_clamp 1
		.amdhsa_ieee_mode 1
		.amdhsa_fp16_overflow 0
		.amdhsa_tg_split 0
		.amdhsa_exception_fp_ieee_invalid_op 0
		.amdhsa_exception_fp_denorm_src 0
		.amdhsa_exception_fp_ieee_div_zero 0
		.amdhsa_exception_fp_ieee_overflow 0
		.amdhsa_exception_fp_ieee_underflow 0
		.amdhsa_exception_fp_ieee_inexact 0
		.amdhsa_exception_int_div_zero 0
	.end_amdhsa_kernel
	.text
.Lfunc_end0:
	.size	fft_rtc_fwd_len208_factors_13_16_wgs_144_tpt_16_dp_ip_CI_sbcc_twdbase5_3step_dirReg, .Lfunc_end0-fft_rtc_fwd_len208_factors_13_16_wgs_144_tpt_16_dp_ip_CI_sbcc_twdbase5_3step_dirReg
                                        ; -- End function
	.section	.AMDGPU.csdata,"",@progbits
; Kernel info:
; codeLenInByte = 12092
; NumSgprs: 56
; NumVgprs: 128
; NumAgprs: 0
; TotalNumVgprs: 128
; ScratchSize: 0
; MemoryBound: 1
; FloatMode: 240
; IeeeMode: 1
; LDSByteSize: 0 bytes/workgroup (compile time only)
; SGPRBlocks: 6
; VGPRBlocks: 15
; NumSGPRsForWavesPerEU: 56
; NumVGPRsForWavesPerEU: 128
; AccumOffset: 128
; Occupancy: 4
; WaveLimiterHint : 1
; COMPUTE_PGM_RSRC2:SCRATCH_EN: 0
; COMPUTE_PGM_RSRC2:USER_SGPR: 2
; COMPUTE_PGM_RSRC2:TRAP_HANDLER: 0
; COMPUTE_PGM_RSRC2:TGID_X_EN: 1
; COMPUTE_PGM_RSRC2:TGID_Y_EN: 0
; COMPUTE_PGM_RSRC2:TGID_Z_EN: 0
; COMPUTE_PGM_RSRC2:TIDIG_COMP_CNT: 0
; COMPUTE_PGM_RSRC3_GFX90A:ACCUM_OFFSET: 31
; COMPUTE_PGM_RSRC3_GFX90A:TG_SPLIT: 0
	.text
	.p2alignl 6, 3212836864
	.fill 256, 4, 3212836864
	.type	__hip_cuid_785a69e9ecca9869,@object ; @__hip_cuid_785a69e9ecca9869
	.section	.bss,"aw",@nobits
	.globl	__hip_cuid_785a69e9ecca9869
__hip_cuid_785a69e9ecca9869:
	.byte	0                               ; 0x0
	.size	__hip_cuid_785a69e9ecca9869, 1

	.ident	"AMD clang version 19.0.0git (https://github.com/RadeonOpenCompute/llvm-project roc-6.4.0 25133 c7fe45cf4b819c5991fe208aaa96edf142730f1d)"
	.section	".note.GNU-stack","",@progbits
	.addrsig
	.addrsig_sym __hip_cuid_785a69e9ecca9869
	.amdgpu_metadata
---
amdhsa.kernels:
  - .agpr_count:     0
    .args:
      - .actual_access:  read_only
        .address_space:  global
        .offset:         0
        .size:           8
        .value_kind:     global_buffer
      - .address_space:  global
        .offset:         8
        .size:           8
        .value_kind:     global_buffer
      - .offset:         16
        .size:           8
        .value_kind:     by_value
      - .actual_access:  read_only
        .address_space:  global
        .offset:         24
        .size:           8
        .value_kind:     global_buffer
      - .actual_access:  read_only
        .address_space:  global
        .offset:         32
        .size:           8
        .value_kind:     global_buffer
      - .offset:         40
        .size:           8
        .value_kind:     by_value
      - .actual_access:  read_only
        .address_space:  global
        .offset:         48
        .size:           8
        .value_kind:     global_buffer
      - .actual_access:  read_only
        .address_space:  global
        .offset:         56
        .size:           8
        .value_kind:     global_buffer
      - .offset:         64
        .size:           4
        .value_kind:     by_value
      - .actual_access:  read_only
        .address_space:  global
        .offset:         72
        .size:           8
        .value_kind:     global_buffer
      - .actual_access:  read_only
        .address_space:  global
        .offset:         80
        .size:           8
        .value_kind:     global_buffer
      - .address_space:  global
        .offset:         88
        .size:           8
        .value_kind:     global_buffer
    .group_segment_fixed_size: 0
    .kernarg_segment_align: 8
    .kernarg_segment_size: 96
    .language:       OpenCL C
    .language_version:
      - 2
      - 0
    .max_flat_workgroup_size: 144
    .name:           fft_rtc_fwd_len208_factors_13_16_wgs_144_tpt_16_dp_ip_CI_sbcc_twdbase5_3step_dirReg
    .private_segment_fixed_size: 0
    .sgpr_count:     56
    .sgpr_spill_count: 0
    .symbol:         fft_rtc_fwd_len208_factors_13_16_wgs_144_tpt_16_dp_ip_CI_sbcc_twdbase5_3step_dirReg.kd
    .uniform_work_group_size: 1
    .uses_dynamic_stack: false
    .vgpr_count:     128
    .vgpr_spill_count: 0
    .wavefront_size: 64
amdhsa.target:   amdgcn-amd-amdhsa--gfx950
amdhsa.version:
  - 1
  - 2
...

	.end_amdgpu_metadata
